;; amdgpu-corpus repo=ROCm/rocFFT kind=compiled arch=gfx1030 opt=O3
	.text
	.amdgcn_target "amdgcn-amd-amdhsa--gfx1030"
	.amdhsa_code_object_version 6
	.protected	bluestein_single_back_len294_dim1_sp_op_CI_CI ; -- Begin function bluestein_single_back_len294_dim1_sp_op_CI_CI
	.globl	bluestein_single_back_len294_dim1_sp_op_CI_CI
	.p2align	8
	.type	bluestein_single_back_len294_dim1_sp_op_CI_CI,@function
bluestein_single_back_len294_dim1_sp_op_CI_CI: ; @bluestein_single_back_len294_dim1_sp_op_CI_CI
; %bb.0:
	s_load_dwordx4 s[12:15], s[4:5], 0x28
	v_mul_u32_u24_e32 v1, 0x619, v0
	s_mov_b32 s0, exec_lo
	v_lshrrev_b32_e32 v1, 16, v1
	v_mad_u64_u32 v[50:51], null, s6, 3, v[1:2]
	v_mov_b32_e32 v51, 0
	s_waitcnt lgkmcnt(0)
	v_cmpx_gt_u64_e64 s[12:13], v[50:51]
	s_cbranch_execz .LBB0_15
; %bb.1:
	s_clause 0x1
	s_load_dwordx4 s[8:11], s[4:5], 0x18
	s_load_dwordx2 s[12:13], s[4:5], 0x0
	v_mul_lo_u16 v1, v1, 42
	v_mul_hi_u32 v14, 0xaaaaaaab, v50
	v_sub_nc_u16 v18, v0, v1
	v_lshrrev_b32_e32 v14, 1, v14
	v_and_b32_e32 v66, 0xffff, v18
	v_lshl_add_u32 v14, v14, 1, v14
	v_lshlrev_b32_e32 v15, 3, v66
	s_waitcnt lgkmcnt(0)
	s_load_dwordx4 s[0:3], s[8:9], 0x0
	v_sub_nc_u32_e32 v14, v50, v14
	v_mul_u32_u24_e32 v14, 0x126, v14
	v_lshlrev_b32_e32 v67, 3, v14
	v_add_nc_u32_e32 v65, v15, v67
	s_waitcnt lgkmcnt(0)
	v_mad_u64_u32 v[0:1], null, s2, v50, 0
	v_mad_u64_u32 v[2:3], null, s0, v66, 0
	s_mul_hi_u32 s6, s0, 49
	s_mul_i32 s2, s0, 49
	v_mad_u64_u32 v[4:5], null, s3, v50, v[1:2]
	s_mul_i32 s3, s1, 49
	s_add_i32 s3, s6, s3
	s_lshl_b64 s[6:7], s[2:3], 3
	v_mad_u64_u32 v[5:6], null, s1, v66, v[3:4]
	v_mov_b32_e32 v1, v4
	v_lshlrev_b64 v[0:1], 3, v[0:1]
	v_mov_b32_e32 v3, v5
	v_add_co_u32 v0, vcc_lo, s14, v0
	v_lshlrev_b64 v[2:3], 3, v[2:3]
	v_add_co_ci_u32_e32 v1, vcc_lo, s15, v1, vcc_lo
	v_add_co_u32 v0, vcc_lo, v0, v2
	v_add_co_ci_u32_e32 v1, vcc_lo, v1, v3, vcc_lo
	v_add_co_u32 v2, vcc_lo, v0, s6
	v_add_co_ci_u32_e32 v3, vcc_lo, s7, v1, vcc_lo
	global_load_dwordx2 v[4:5], v[0:1], off
	v_add_co_u32 v0, vcc_lo, v2, s6
	v_add_co_ci_u32_e32 v1, vcc_lo, s7, v3, vcc_lo
	s_clause 0x3
	global_load_dwordx2 v[61:62], v15, s[12:13]
	global_load_dwordx2 v[53:54], v15, s[12:13] offset:392
	global_load_dwordx2 v[55:56], v15, s[12:13] offset:784
	;; [unrolled: 1-line block ×3, first 2 shown]
	v_add_co_u32 v6, vcc_lo, v0, s6
	v_add_co_ci_u32_e32 v7, vcc_lo, s7, v1, vcc_lo
	s_clause 0x1
	global_load_dwordx2 v[2:3], v[2:3], off
	global_load_dwordx2 v[8:9], v[0:1], off
	v_add_co_u32 v10, vcc_lo, v6, s6
	v_add_co_ci_u32_e32 v11, vcc_lo, s7, v7, vcc_lo
	global_load_dwordx2 v[6:7], v[6:7], off
	v_add_co_u32 v0, vcc_lo, v10, s6
	v_add_co_ci_u32_e32 v1, vcc_lo, s7, v11, vcc_lo
	global_load_dwordx2 v[10:11], v[10:11], off
	s_clause 0x1
	global_load_dwordx2 v[57:58], v15, s[12:13] offset:1568
	global_load_dwordx2 v[59:60], v15, s[12:13] offset:1960
	global_load_dwordx2 v[12:13], v[0:1], off
	s_load_dwordx2 s[2:3], s[4:5], 0x38
	s_load_dwordx4 s[8:11], s[10:11], 0x0
	v_add_co_u32 v48, s12, s12, v15
	v_add_co_ci_u32_e64 v49, null, s13, 0, s12
	v_cmp_gt_u16_e32 vcc_lo, 7, v18
	s_waitcnt vmcnt(10)
	v_mul_f32_e32 v14, v5, v62
	v_mul_f32_e32 v16, v4, v62
	v_fmac_f32_e32 v14, v4, v61
	v_fma_f32 v15, v5, v61, -v16
	s_waitcnt vmcnt(6)
	v_mul_f32_e32 v4, v3, v54
	v_mul_f32_e32 v5, v2, v54
	s_waitcnt vmcnt(5)
	v_mul_f32_e32 v16, v9, v56
	v_mul_f32_e32 v17, v8, v56
	v_fmac_f32_e32 v4, v2, v53
	s_waitcnt vmcnt(4)
	v_mul_f32_e32 v2, v7, v52
	v_fma_f32 v5, v3, v53, -v5
	v_mul_f32_e32 v3, v6, v52
	v_fmac_f32_e32 v16, v8, v55
	v_fma_f32 v17, v9, v55, -v17
	v_fmac_f32_e32 v2, v6, v51
	s_waitcnt vmcnt(2)
	v_mul_f32_e32 v6, v11, v58
	v_mul_f32_e32 v9, v10, v58
	s_waitcnt vmcnt(0)
	v_mul_f32_e32 v8, v13, v60
	v_mul_f32_e32 v19, v12, v60
	v_fma_f32 v3, v7, v51, -v3
	v_fmac_f32_e32 v6, v10, v57
	v_fma_f32 v7, v11, v57, -v9
	v_fmac_f32_e32 v8, v12, v59
	v_fma_f32 v9, v13, v59, -v19
	ds_write2_b64 v65, v[14:15], v[4:5] offset1:49
	ds_write2_b64 v65, v[16:17], v[2:3] offset0:98 offset1:147
	ds_write2_b64 v65, v[6:7], v[8:9] offset0:196 offset1:245
	s_and_saveexec_b32 s12, vcc_lo
	s_cbranch_execz .LBB0_3
; %bb.2:
	v_mad_u64_u32 v[0:1], null, 0xfffff9a8, s0, v[0:1]
	s_mulk_i32 s1, 0xf9a8
	s_sub_i32 s0, s1, s0
	v_add_nc_u32_e32 v1, s0, v1
	v_add_co_u32 v2, s0, v0, s6
	v_add_co_ci_u32_e64 v3, s0, s7, v1, s0
	v_add_co_u32 v4, s0, v2, s6
	v_add_co_ci_u32_e64 v5, s0, s7, v3, s0
	;; [unrolled: 2-line block ×3, first 2 shown]
	s_clause 0x3
	global_load_dwordx2 v[8:9], v[48:49], off offset:336
	global_load_dwordx2 v[10:11], v[48:49], off offset:728
	;; [unrolled: 1-line block ×4, first 2 shown]
	global_load_dwordx2 v[0:1], v[0:1], off
	global_load_dwordx2 v[2:3], v[2:3], off
	;; [unrolled: 1-line block ×4, first 2 shown]
	v_add_co_u32 v6, s0, v6, s6
	v_add_co_ci_u32_e64 v7, s0, s7, v7, s0
	v_add_co_u32 v18, s0, 0x800, v48
	v_add_co_ci_u32_e64 v19, s0, 0, v49, s0
	;; [unrolled: 2-line block ×3, first 2 shown]
	global_load_dwordx2 v[6:7], v[6:7], off
	s_clause 0x1
	global_load_dwordx2 v[22:23], v[48:49], off offset:1904
	global_load_dwordx2 v[18:19], v[18:19], off offset:248
	global_load_dwordx2 v[20:21], v[20:21], off
	s_waitcnt vmcnt(7)
	v_mul_f32_e32 v24, v1, v9
	v_mul_f32_e32 v9, v0, v9
	v_fmac_f32_e32 v24, v0, v8
	s_waitcnt vmcnt(6)
	v_mul_f32_e32 v0, v3, v11
	v_fma_f32 v25, v1, v8, -v9
	v_mul_f32_e32 v1, v2, v11
	s_waitcnt vmcnt(5)
	v_mul_f32_e32 v8, v5, v13
	v_mul_f32_e32 v9, v4, v13
	v_fmac_f32_e32 v0, v2, v10
	s_waitcnt vmcnt(4)
	v_mul_f32_e32 v2, v17, v15
	v_fma_f32 v1, v3, v10, -v1
	v_mul_f32_e32 v3, v16, v15
	v_fmac_f32_e32 v8, v4, v12
	v_fma_f32 v9, v5, v12, -v9
	s_waitcnt vmcnt(2)
	v_mul_f32_e32 v4, v7, v23
	v_mul_f32_e32 v5, v6, v23
	s_waitcnt vmcnt(0)
	v_mul_f32_e32 v10, v21, v19
	v_mul_f32_e32 v11, v20, v19
	v_fmac_f32_e32 v2, v16, v14
	v_fma_f32 v3, v17, v14, -v3
	v_fmac_f32_e32 v4, v6, v22
	v_fma_f32 v5, v7, v22, -v5
	;; [unrolled: 2-line block ×3, first 2 shown]
	v_add_nc_u32_e32 v6, 0x400, v65
	ds_write2_b64 v65, v[24:25], v[0:1] offset0:42 offset1:91
	ds_write2_b64 v65, v[8:9], v[2:3] offset0:140 offset1:189
	ds_write2_b64 v6, v[4:5], v[10:11] offset0:110 offset1:159
.LBB0_3:
	s_or_b32 exec_lo, exec_lo, s12
	s_waitcnt lgkmcnt(0)
	s_barrier
	buffer_gl0_inv
	ds_read2_b64 v[12:15], v65 offset1:49
	ds_read2_b64 v[20:23], v65 offset0:98 offset1:147
	ds_read2_b64 v[16:19], v65 offset0:196 offset1:245
	s_load_dwordx2 s[0:1], s[4:5], 0x8
                                        ; implicit-def: $vgpr0
                                        ; implicit-def: $vgpr8
                                        ; implicit-def: $vgpr4
	s_and_saveexec_b32 s4, vcc_lo
	s_cbranch_execz .LBB0_5
; %bb.4:
	v_add_nc_u32_e32 v4, 0x400, v65
	ds_read2_b64 v[0:3], v65 offset0:42 offset1:91
	ds_read2_b64 v[8:11], v65 offset0:140 offset1:189
	;; [unrolled: 1-line block ×3, first 2 shown]
.LBB0_5:
	s_or_b32 exec_lo, exec_lo, s4
	s_waitcnt lgkmcnt(0)
	v_add_f32_e32 v24, v20, v16
	v_add_f32_e32 v25, v12, v20
	v_sub_f32_e32 v26, v21, v17
	v_add_f32_e32 v27, v22, v18
	v_add_co_u32 v37, null, v66, 42
	v_fma_f32 v12, -0.5, v24, v12
	v_add_f32_e32 v24, v21, v17
	v_add_f32_e32 v21, v13, v21
	;; [unrolled: 1-line block ×3, first 2 shown]
	v_sub_f32_e32 v16, v20, v16
	v_fma_f32 v20, -0.5, v27, v14
	v_fma_f32 v13, -0.5, v24, v13
	v_add_f32_e32 v24, v23, v19
	v_sub_f32_e32 v25, v23, v19
	v_add_f32_e32 v23, v15, v23
	v_fmamk_f32 v32, v26, 0x3f5db3d7, v12
	v_fmac_f32_e32 v12, 0xbf5db3d7, v26
	v_fmac_f32_e32 v15, -0.5, v24
	v_sub_f32_e32 v24, v22, v18
	v_add_f32_e32 v14, v14, v22
	v_fmamk_f32 v22, v25, 0x3f5db3d7, v20
	v_fmac_f32_e32 v20, 0xbf5db3d7, v25
	v_add_f32_e32 v17, v21, v17
	v_fmamk_f32 v26, v24, 0xbf5db3d7, v15
	v_fmac_f32_e32 v15, 0x3f5db3d7, v24
	v_add_f32_e32 v14, v14, v18
	v_mul_f32_e32 v18, -0.5, v20
	v_fmamk_f32 v21, v16, 0xbf5db3d7, v13
	v_fmac_f32_e32 v13, 0x3f5db3d7, v16
	v_mul_f32_e32 v24, -0.5, v15
	v_mul_f32_e32 v16, 0x3f5db3d7, v26
	v_fmac_f32_e32 v18, 0x3f5db3d7, v15
	v_add_f32_e32 v15, v8, v4
	v_add_f32_e32 v19, v23, v19
	v_fmac_f32_e32 v24, 0xbf5db3d7, v20
	v_mul_f32_e32 v23, 0xbf5db3d7, v22
	v_fmac_f32_e32 v16, 0.5, v22
	v_add_f32_e32 v25, v31, v14
	v_add_f32_e32 v29, v12, v18
	;; [unrolled: 1-line block ×3, first 2 shown]
	v_sub_f32_e32 v31, v31, v14
	v_sub_f32_e32 v35, v12, v18
	v_add_f32_e32 v12, v0, v8
	v_fmac_f32_e32 v0, -0.5, v15
	v_sub_f32_e32 v14, v9, v5
	v_sub_f32_e32 v36, v13, v24
	v_add_f32_e32 v13, v10, v6
	v_add_f32_e32 v15, v11, v7
	v_fmac_f32_e32 v23, 0.5, v26
	v_add_f32_e32 v27, v32, v16
	v_add_f32_e32 v26, v17, v19
	v_sub_f32_e32 v33, v32, v16
	v_sub_f32_e32 v32, v17, v19
	v_add_f32_e32 v16, v12, v4
	v_fmamk_f32 v12, v14, 0x3f5db3d7, v0
	v_fmac_f32_e32 v0, 0xbf5db3d7, v14
	v_add_f32_e32 v14, v1, v9
	v_add_f32_e32 v9, v9, v5
	;; [unrolled: 1-line block ×3, first 2 shown]
	v_fmac_f32_e32 v2, -0.5, v13
	v_sub_f32_e32 v13, v11, v7
	v_add_f32_e32 v11, v3, v11
	v_fmac_f32_e32 v3, -0.5, v15
	v_sub_f32_e32 v10, v10, v6
	v_fmac_f32_e32 v1, -0.5, v9
	v_sub_f32_e32 v8, v8, v4
	v_add_f32_e32 v4, v14, v5
	v_fmamk_f32 v9, v13, 0x3f5db3d7, v2
	v_fmamk_f32 v14, v10, 0xbf5db3d7, v3
	v_fmac_f32_e32 v2, 0xbf5db3d7, v13
	v_fmac_f32_e32 v3, 0x3f5db3d7, v10
	v_fmamk_f32 v13, v8, 0xbf5db3d7, v1
	v_fmac_f32_e32 v1, 0x3f5db3d7, v8
	v_mul_f32_e32 v8, 0x3f5db3d7, v14
	v_mul_f32_e32 v10, -0.5, v2
	v_mul_f32_e32 v15, 0xbf5db3d7, v9
	v_mul_f32_e32 v38, -0.5, v3
	v_add_f32_e32 v5, v17, v6
	v_fmac_f32_e32 v8, 0.5, v9
	v_fmac_f32_e32 v10, 0x3f5db3d7, v3
	v_fmac_f32_e32 v15, 0.5, v14
	v_fmac_f32_e32 v38, 0xbf5db3d7, v2
	v_add_f32_e32 v2, v11, v7
	v_mul_u32_u24_e32 v24, 6, v66
	v_add_f32_e32 v28, v21, v23
	v_sub_f32_e32 v34, v21, v23
	v_add_f32_e32 v18, v12, v8
	v_add_f32_e32 v20, v0, v10
	;; [unrolled: 1-line block ×4, first 2 shown]
	v_sub_f32_e32 v22, v16, v5
	v_sub_f32_e32 v12, v12, v8
	;; [unrolled: 1-line block ×6, first 2 shown]
	v_lshl_add_u32 v70, v24, 3, v67
	v_mul_u32_u24_e32 v68, 6, v37
	s_barrier
	buffer_gl0_inv
	ds_write_b128 v70, v[25:28]
	ds_write_b128 v70, v[29:32] offset:16
	ds_write_b128 v70, v[33:36] offset:32
	s_and_saveexec_b32 s4, vcc_lo
	s_cbranch_execz .LBB0_7
; %bb.6:
	v_add_f32_e32 v17, v4, v2
	v_add_f32_e32 v16, v16, v5
	v_lshl_add_u32 v0, v68, 3, v67
	ds_write_b128 v0, v[16:19]
	ds_write_b128 v0, v[20:23] offset:16
	ds_write_b128 v0, v[12:15] offset:32
.LBB0_7:
	s_or_b32 exec_lo, exec_lo, s4
	v_and_b32_e32 v0, 0xff, v66
	v_mov_b32_e32 v1, 6
	s_waitcnt lgkmcnt(0)
	s_barrier
	buffer_gl0_inv
	v_mul_lo_u16 v0, 0xab, v0
	v_mov_b32_e32 v17, 42
	v_lshrrev_b16 v16, 10, v0
	v_mul_lo_u16 v0, v16, 6
	v_mul_u32_u24_sdwa v38, v16, v17 dst_sel:DWORD dst_unused:UNUSED_PAD src0_sel:WORD_0 src1_sel:DWORD
	v_sub_nc_u16 v37, v66, v0
	v_mul_u32_u24_sdwa v0, v37, v1 dst_sel:DWORD dst_unused:UNUSED_PAD src0_sel:BYTE_0 src1_sel:DWORD
	v_add_nc_u32_sdwa v37, v38, v37 dst_sel:DWORD dst_unused:UNUSED_PAD src0_sel:DWORD src1_sel:BYTE_0
	v_lshlrev_b32_e32 v38, 3, v24
	v_lshlrev_b32_e32 v0, 3, v0
	v_lshl_add_u32 v69, v37, 3, v67
	s_clause 0x2
	global_load_dwordx4 v[8:11], v0, s[0:1]
	global_load_dwordx4 v[4:7], v0, s[0:1] offset:16
	global_load_dwordx4 v[0:3], v0, s[0:1] offset:32
	ds_read2_b64 v[25:28], v65 offset1:42
	ds_read2_b64 v[29:32], v65 offset0:84 offset1:126
	ds_read2_b64 v[33:36], v65 offset0:168 offset1:210
	ds_read_b64 v[16:17], v65 offset:2016
	s_waitcnt vmcnt(0) lgkmcnt(0)
	s_barrier
	buffer_gl0_inv
	v_mul_f32_e32 v24, v28, v9
	v_mul_f32_e32 v37, v27, v9
	;; [unrolled: 1-line block ×12, first 2 shown]
	v_fma_f32 v24, v27, v8, -v24
	v_fmac_f32_e32 v37, v28, v8
	v_fma_f32 v27, v29, v10, -v39
	v_fmac_f32_e32 v40, v30, v10
	v_fma_f32 v16, v16, v2, -v47
	v_fmac_f32_e32 v63, v17, v2
	v_fma_f32 v17, v35, v0, -v45
	v_fmac_f32_e32 v46, v36, v0
	v_fma_f32 v28, v31, v4, -v41
	v_fmac_f32_e32 v42, v32, v4
	v_fma_f32 v29, v33, v6, -v43
	v_fmac_f32_e32 v44, v34, v6
	v_add_f32_e32 v30, v24, v16
	v_add_f32_e32 v31, v37, v63
	;; [unrolled: 1-line block ×4, first 2 shown]
	v_sub_f32_e32 v16, v24, v16
	v_sub_f32_e32 v24, v37, v63
	;; [unrolled: 1-line block ×4, first 2 shown]
	v_add_f32_e32 v34, v28, v29
	v_add_f32_e32 v35, v42, v44
	v_sub_f32_e32 v28, v29, v28
	v_sub_f32_e32 v29, v44, v42
	v_add_f32_e32 v36, v32, v30
	v_add_f32_e32 v37, v33, v31
	v_sub_f32_e32 v39, v32, v30
	v_sub_f32_e32 v40, v33, v31
	;; [unrolled: 1-line block ×6, first 2 shown]
	v_add_f32_e32 v41, v28, v17
	v_add_f32_e32 v42, v29, v27
	v_sub_f32_e32 v43, v28, v17
	v_sub_f32_e32 v44, v29, v27
	;; [unrolled: 1-line block ×3, first 2 shown]
	v_add_f32_e32 v34, v34, v36
	v_add_f32_e32 v35, v35, v37
	v_sub_f32_e32 v27, v27, v24
	v_sub_f32_e32 v28, v16, v28
	v_sub_f32_e32 v29, v24, v29
	v_add_f32_e32 v36, v41, v16
	v_add_f32_e32 v24, v42, v24
	v_mul_f32_e32 v30, 0x3f4a47b2, v30
	v_mul_f32_e32 v31, 0x3f4a47b2, v31
	;; [unrolled: 1-line block ×7, first 2 shown]
	v_add_f32_e32 v16, v25, v34
	v_add_f32_e32 v17, v26, v35
	v_mul_f32_e32 v46, 0x3f5ff5aa, v27
	v_fmamk_f32 v25, v32, 0x3d64c772, v30
	v_fmamk_f32 v26, v33, 0x3d64c772, v31
	v_fma_f32 v32, 0x3f3bfb3b, v39, -v37
	v_fma_f32 v33, 0x3f3bfb3b, v40, -v41
	;; [unrolled: 1-line block ×4, first 2 shown]
	v_fmamk_f32 v37, v28, 0x3eae86e6, v42
	v_fmamk_f32 v39, v29, 0x3eae86e6, v43
	v_fma_f32 v40, 0x3f5ff5aa, v45, -v42
	v_fma_f32 v41, 0x3f5ff5aa, v27, -v43
	;; [unrolled: 1-line block ×3, first 2 shown]
	v_fmamk_f32 v27, v34, 0xbf955555, v16
	v_fmamk_f32 v28, v35, 0xbf955555, v17
	v_fma_f32 v43, 0xbeae86e6, v29, -v46
	v_fmac_f32_e32 v37, 0x3ee1c552, v36
	v_fmac_f32_e32 v39, 0x3ee1c552, v24
	v_add_f32_e32 v34, v25, v27
	v_add_f32_e32 v35, v26, v28
	v_fmac_f32_e32 v40, 0x3ee1c552, v36
	v_fmac_f32_e32 v41, 0x3ee1c552, v24
	;; [unrolled: 1-line block ×4, first 2 shown]
	v_add_f32_e32 v32, v32, v27
	v_add_f32_e32 v36, v30, v27
	;; [unrolled: 1-line block ×5, first 2 shown]
	v_sub_f32_e32 v25, v35, v37
	v_add_f32_e32 v26, v43, v36
	v_sub_f32_e32 v27, v44, v42
	v_sub_f32_e32 v28, v32, v41
	v_add_f32_e32 v29, v40, v31
	v_add_f32_e32 v30, v41, v32
	v_sub_f32_e32 v31, v31, v40
	v_sub_f32_e32 v32, v36, v43
	v_add_f32_e32 v33, v42, v44
	v_sub_f32_e32 v34, v34, v39
	v_add_f32_e32 v35, v37, v35
	ds_write2_b64 v69, v[16:17], v[24:25] offset1:6
	ds_write2_b64 v69, v[26:27], v[28:29] offset0:12 offset1:18
	ds_write2_b64 v69, v[30:31], v[32:33] offset0:24 offset1:30
	ds_write_b64 v69, v[34:35] offset:288
	s_waitcnt lgkmcnt(0)
	s_barrier
	buffer_gl0_inv
	s_clause 0x2
	global_load_dwordx4 v[32:35], v38, s[0:1] offset:288
	global_load_dwordx4 v[28:31], v38, s[0:1] offset:304
	;; [unrolled: 1-line block ×3, first 2 shown]
	ds_read2_b64 v[38:41], v65 offset1:42
	ds_read2_b64 v[42:45], v65 offset0:84 offset1:126
	ds_read2_b64 v[71:74], v65 offset0:168 offset1:210
	ds_read_b64 v[16:17], v65 offset:2016
	v_add_co_u32 v36, s0, 0x930, v48
	v_add_co_ci_u32_e64 v37, s0, 0, v49, s0
	s_waitcnt vmcnt(2) lgkmcnt(3)
	v_mul_f32_e32 v46, v41, v33
	v_mul_f32_e32 v47, v40, v33
	s_waitcnt lgkmcnt(2)
	v_mul_f32_e32 v63, v43, v35
	s_waitcnt vmcnt(0) lgkmcnt(1)
	v_mul_f32_e32 v79, v74, v25
	s_waitcnt lgkmcnt(0)
	v_mul_f32_e32 v81, v17, v27
	v_mul_f32_e32 v82, v16, v27
	;; [unrolled: 1-line block ×8, first 2 shown]
	v_fma_f32 v40, v40, v32, -v46
	v_fmac_f32_e32 v47, v41, v32
	v_fma_f32 v41, v42, v34, -v63
	v_fma_f32 v16, v16, v26, -v81
	v_fmac_f32_e32 v82, v17, v26
	v_fma_f32 v17, v73, v24, -v79
	v_fmac_f32_e32 v64, v43, v34
	v_fmac_f32_e32 v80, v74, v24
	v_fma_f32 v42, v44, v28, -v75
	v_fmac_f32_e32 v76, v45, v28
	v_fma_f32 v43, v71, v30, -v77
	v_fmac_f32_e32 v78, v72, v30
	v_add_f32_e32 v44, v40, v16
	v_add_f32_e32 v46, v41, v17
	;; [unrolled: 1-line block ×3, first 2 shown]
	v_sub_f32_e32 v16, v40, v16
	v_sub_f32_e32 v40, v47, v82
	v_add_f32_e32 v47, v64, v80
	v_sub_f32_e32 v17, v41, v17
	v_sub_f32_e32 v41, v64, v80
	v_add_f32_e32 v63, v42, v43
	v_add_f32_e32 v64, v76, v78
	v_sub_f32_e32 v42, v43, v42
	v_sub_f32_e32 v43, v78, v76
	v_add_f32_e32 v71, v46, v44
	v_add_f32_e32 v72, v47, v45
	v_sub_f32_e32 v73, v46, v44
	v_sub_f32_e32 v74, v47, v45
	;; [unrolled: 1-line block ×6, first 2 shown]
	v_add_f32_e32 v75, v42, v17
	v_add_f32_e32 v76, v43, v41
	v_sub_f32_e32 v77, v42, v17
	v_sub_f32_e32 v78, v43, v41
	;; [unrolled: 1-line block ×4, first 2 shown]
	v_add_f32_e32 v63, v63, v71
	v_add_f32_e32 v64, v64, v72
	v_sub_f32_e32 v42, v16, v42
	v_sub_f32_e32 v43, v40, v43
	v_add_f32_e32 v16, v75, v16
	v_add_f32_e32 v40, v76, v40
	v_mul_f32_e32 v44, 0x3f4a47b2, v44
	v_mul_f32_e32 v45, 0x3f4a47b2, v45
	v_mul_f32_e32 v71, 0x3d64c772, v46
	v_mul_f32_e32 v72, 0x3d64c772, v47
	v_mul_f32_e32 v75, 0xbf08b237, v77
	v_mul_f32_e32 v76, 0xbf08b237, v78
	v_mul_f32_e32 v77, 0x3f5ff5aa, v17
	v_mul_f32_e32 v78, 0x3f5ff5aa, v41
	v_add_f32_e32 v38, v38, v63
	v_add_f32_e32 v39, v39, v64
	v_fmamk_f32 v46, v46, 0x3d64c772, v44
	v_fmamk_f32 v47, v47, 0x3d64c772, v45
	v_fma_f32 v71, 0x3f3bfb3b, v73, -v71
	v_fma_f32 v72, 0x3f3bfb3b, v74, -v72
	;; [unrolled: 1-line block ×4, first 2 shown]
	v_fmamk_f32 v73, v42, 0x3eae86e6, v75
	v_fmamk_f32 v74, v43, 0x3eae86e6, v76
	v_fma_f32 v17, 0x3f5ff5aa, v17, -v75
	v_fma_f32 v75, 0x3f5ff5aa, v41, -v76
	;; [unrolled: 1-line block ×4, first 2 shown]
	v_fmamk_f32 v41, v63, 0xbf955555, v38
	v_fmamk_f32 v42, v64, 0xbf955555, v39
	v_fmac_f32_e32 v73, 0x3ee1c552, v16
	v_fmac_f32_e32 v74, 0x3ee1c552, v40
	;; [unrolled: 1-line block ×5, first 2 shown]
	v_add_f32_e32 v16, v46, v41
	v_add_f32_e32 v63, v44, v41
	v_add_f32_e32 v64, v47, v42
	v_add_f32_e32 v47, v72, v42
	v_fmac_f32_e32 v75, 0x3ee1c552, v40
	v_add_f32_e32 v46, v71, v41
	v_add_f32_e32 v78, v45, v42
	;; [unrolled: 1-line block ×4, first 2 shown]
	v_sub_f32_e32 v71, v63, v77
	v_sub_f32_e32 v63, v16, v74
	v_add_co_u32 v16, s0, 0x800, v48
	v_sub_f32_e32 v41, v64, v73
	v_add_f32_e32 v45, v17, v47
	v_sub_f32_e32 v47, v47, v17
	v_add_co_ci_u32_e64 v17, s0, 0, v49, s0
	v_sub_f32_e32 v43, v78, v76
	v_sub_f32_e32 v44, v46, v75
	v_add_f32_e32 v46, v75, v46
	v_add_f32_e32 v72, v76, v78
	;; [unrolled: 1-line block ×3, first 2 shown]
	ds_write2_b64 v65, v[38:39], v[40:41] offset1:42
	ds_write2_b64 v65, v[42:43], v[44:45] offset0:84 offset1:126
	ds_write2_b64 v65, v[46:47], v[71:72] offset0:168 offset1:210
	ds_write_b64 v65, v[63:64] offset:2016
	s_waitcnt lgkmcnt(0)
	s_barrier
	buffer_gl0_inv
	s_clause 0x5
	global_load_dwordx2 v[46:47], v[16:17], off offset:304
	global_load_dwordx2 v[75:76], v[36:37], off offset:392
	;; [unrolled: 1-line block ×6, first 2 shown]
	ds_read2_b64 v[38:41], v65 offset1:49
	ds_read2_b64 v[42:45], v65 offset0:98 offset1:147
	ds_read2_b64 v[71:74], v65 offset0:196 offset1:245
	s_waitcnt vmcnt(5) lgkmcnt(2)
	v_mul_f32_e32 v86, v39, v47
	v_mul_f32_e32 v85, v38, v47
	s_waitcnt vmcnt(4)
	v_mul_f32_e32 v87, v41, v76
	v_mul_f32_e32 v47, v40, v76
	s_waitcnt vmcnt(3) lgkmcnt(1)
	v_mul_f32_e32 v88, v43, v78
	v_mul_f32_e32 v76, v42, v78
	s_waitcnt vmcnt(2)
	v_mul_f32_e32 v89, v45, v80
	v_mul_f32_e32 v78, v44, v80
	;; [unrolled: 6-line block ×3, first 2 shown]
	v_fma_f32 v84, v38, v46, -v86
	v_fmac_f32_e32 v85, v39, v46
	v_fma_f32 v46, v40, v75, -v87
	v_fmac_f32_e32 v47, v41, v75
	;; [unrolled: 2-line block ×6, first 2 shown]
	ds_write2_b64 v65, v[84:85], v[46:47] offset1:49
	ds_write2_b64 v65, v[75:76], v[77:78] offset0:98 offset1:147
	ds_write2_b64 v65, v[79:80], v[81:82] offset0:196 offset1:245
	s_and_saveexec_b32 s1, vcc_lo
	s_cbranch_execz .LBB0_9
; %bb.8:
	s_clause 0x4
	global_load_dwordx2 v[71:72], v[36:37], off offset:336
	global_load_dwordx2 v[73:74], v[36:37], off offset:728
	;; [unrolled: 1-line block ×5, first 2 shown]
	v_add_co_u32 v36, s0, 0x800, v36
	v_add_co_ci_u32_e64 v37, s0, 0, v37, s0
	v_add_nc_u32_e32 v85, 0x400, v65
	global_load_dwordx2 v[81:82], v[36:37], off offset:248
	ds_read2_b64 v[36:39], v65 offset0:42 offset1:91
	ds_read2_b64 v[40:43], v65 offset0:140 offset1:189
	;; [unrolled: 1-line block ×3, first 2 shown]
	s_waitcnt vmcnt(5) lgkmcnt(2)
	v_mul_f32_e32 v83, v37, v72
	v_mul_f32_e32 v84, v36, v72
	s_waitcnt vmcnt(4)
	v_mul_f32_e32 v86, v39, v74
	v_mul_f32_e32 v72, v38, v74
	s_waitcnt vmcnt(3) lgkmcnt(1)
	v_mul_f32_e32 v87, v41, v76
	v_mul_f32_e32 v74, v40, v76
	s_waitcnt vmcnt(2)
	v_mul_f32_e32 v88, v43, v78
	v_mul_f32_e32 v76, v42, v78
	s_waitcnt vmcnt(1) lgkmcnt(0)
	v_mul_f32_e32 v89, v45, v80
	v_mul_f32_e32 v78, v44, v80
	v_fma_f32 v83, v36, v71, -v83
	v_fmac_f32_e32 v84, v37, v71
	s_waitcnt vmcnt(0)
	v_mul_f32_e32 v36, v47, v82
	v_mul_f32_e32 v37, v46, v82
	v_fma_f32 v71, v38, v73, -v86
	v_fmac_f32_e32 v72, v39, v73
	v_fma_f32 v73, v40, v75, -v87
	v_fmac_f32_e32 v74, v41, v75
	;; [unrolled: 2-line block ×5, first 2 shown]
	ds_write2_b64 v65, v[83:84], v[71:72] offset0:42 offset1:91
	ds_write2_b64 v65, v[73:74], v[75:76] offset0:140 offset1:189
	;; [unrolled: 1-line block ×3, first 2 shown]
.LBB0_9:
	s_or_b32 exec_lo, exec_lo, s1
	s_waitcnt lgkmcnt(0)
	s_barrier
	buffer_gl0_inv
	ds_read2_b64 v[36:39], v65 offset1:49
	ds_read2_b64 v[44:47], v65 offset0:98 offset1:147
	ds_read2_b64 v[40:43], v65 offset0:196 offset1:245
	s_and_saveexec_b32 s0, vcc_lo
	s_cbranch_execz .LBB0_11
; %bb.10:
	v_lshl_add_u32 v12, v66, 3, v67
	ds_read2_b64 v[18:21], v12 offset0:91 offset1:140
	ds_read2_b64 v[71:74], v12 offset0:189 offset1:238
	ds_read_b64 v[63:64], v65 offset:336
	ds_read_b64 v[14:15], v12 offset:2296
	s_waitcnt lgkmcnt(2)
	v_mov_b32_e32 v22, v71
	v_mov_b32_e32 v23, v72
	;; [unrolled: 1-line block ×4, first 2 shown]
.LBB0_11:
	s_or_b32 exec_lo, exec_lo, s0
	s_waitcnt lgkmcnt(0)
	v_add_f32_e32 v71, v44, v40
	v_add_f32_e32 v72, v36, v44
	;; [unrolled: 1-line block ×3, first 2 shown]
	v_sub_f32_e32 v73, v45, v41
	v_sub_f32_e32 v44, v44, v40
	v_fma_f32 v71, -0.5, v71, v36
	v_add_f32_e32 v36, v37, v45
	v_add_f32_e32 v45, v72, v40
	v_fma_f32 v72, -0.5, v74, v37
	v_add_f32_e32 v37, v47, v43
	v_fmamk_f32 v74, v73, 0xbf5db3d7, v71
	v_fmac_f32_e32 v71, 0x3f5db3d7, v73
	v_add_f32_e32 v73, v36, v41
	v_add_f32_e32 v36, v46, v42
	v_add_f32_e32 v40, v39, v47
	v_fmac_f32_e32 v39, -0.5, v37
	v_sub_f32_e32 v37, v46, v42
	v_fmamk_f32 v75, v44, 0x3f5db3d7, v72
	v_add_f32_e32 v41, v38, v46
	v_fma_f32 v38, -0.5, v36, v38
	v_sub_f32_e32 v36, v47, v43
	v_fmac_f32_e32 v72, 0xbf5db3d7, v44
	v_fmamk_f32 v44, v37, 0x3f5db3d7, v39
	v_fmac_f32_e32 v39, 0xbf5db3d7, v37
	v_add_f32_e32 v42, v41, v42
	v_fmamk_f32 v37, v36, 0xbf5db3d7, v38
	v_fmac_f32_e32 v38, 0x3f5db3d7, v36
	v_mul_f32_e32 v46, 0xbf5db3d7, v44
	v_mul_f32_e32 v76, 0.5, v44
	v_mul_f32_e32 v47, 0xbf5db3d7, v39
	v_mul_f32_e32 v77, -0.5, v39
	v_add_f32_e32 v43, v40, v43
	v_fmac_f32_e32 v46, 0.5, v37
	v_fmac_f32_e32 v76, 0x3f5db3d7, v37
	v_fmac_f32_e32 v47, -0.5, v38
	v_fmac_f32_e32 v77, 0x3f5db3d7, v38
	v_add_f32_e32 v36, v45, v42
	v_add_f32_e32 v38, v74, v46
	;; [unrolled: 1-line block ×6, first 2 shown]
	v_sub_f32_e32 v42, v45, v42
	v_sub_f32_e32 v43, v73, v43
	;; [unrolled: 1-line block ×6, first 2 shown]
	s_barrier
	buffer_gl0_inv
	ds_write_b128 v70, v[36:39]
	ds_write_b128 v70, v[40:43] offset:16
	ds_write_b128 v70, v[44:47] offset:32
	s_and_saveexec_b32 s0, vcc_lo
	s_cbranch_execz .LBB0_13
; %bb.12:
	v_add_f32_e32 v36, v23, v15
	v_add_f32_e32 v37, v21, v13
	;; [unrolled: 1-line block ×3, first 2 shown]
	v_sub_f32_e32 v39, v22, v14
	v_sub_f32_e32 v40, v20, v12
	v_fma_f32 v36, -0.5, v36, v19
	v_sub_f32_e32 v41, v23, v15
	v_fma_f32 v42, -0.5, v38, v18
	v_add_f32_e32 v38, v64, v21
	v_fma_f32 v44, -0.5, v37, v64
	v_fmamk_f32 v43, v39, 0xbf5db3d7, v36
	v_fmac_f32_e32 v36, 0x3f5db3d7, v39
	v_add_f32_e32 v37, v20, v12
	v_add_f32_e32 v19, v19, v23
	v_fmamk_f32 v45, v41, 0x3f5db3d7, v42
	v_fmac_f32_e32 v42, 0xbf5db3d7, v41
	v_mul_f32_e32 v46, 0.5, v36
	v_fmamk_f32 v47, v40, 0xbf5db3d7, v44
	v_fmac_f32_e32 v44, 0x3f5db3d7, v40
	v_add_f32_e32 v23, v38, v13
	v_fma_f32 v40, -0.5, v37, v63
	v_sub_f32_e32 v13, v21, v13
	v_add_f32_e32 v19, v19, v15
	v_add_f32_e32 v15, v63, v20
	;; [unrolled: 1-line block ×3, first 2 shown]
	v_mul_f32_e32 v36, 0xbf5db3d7, v36
	v_mul_f32_e32 v41, -0.5, v43
	v_mul_f32_e32 v43, 0xbf5db3d7, v43
	v_fmac_f32_e32 v46, 0x3f5db3d7, v42
	v_fmamk_f32 v22, v13, 0x3f5db3d7, v40
	v_add_f32_e32 v12, v15, v12
	v_add_f32_e32 v18, v18, v14
	v_fmac_f32_e32 v40, 0xbf5db3d7, v13
	v_fmac_f32_e32 v36, 0.5, v42
	v_fmac_f32_e32 v41, 0x3f5db3d7, v45
	v_fmac_f32_e32 v43, -0.5, v45
	v_sub_f32_e32 v15, v23, v19
	v_sub_f32_e32 v14, v12, v18
	v_add_f32_e32 v21, v44, v46
	v_add_f32_e32 v19, v23, v19
	;; [unrolled: 1-line block ×4, first 2 shown]
	v_lshl_add_u32 v23, v68, 3, v67
	v_add_f32_e32 v13, v47, v41
	v_add_f32_e32 v12, v22, v43
	v_sub_f32_e32 v39, v47, v41
	v_sub_f32_e32 v37, v44, v46
	;; [unrolled: 1-line block ×4, first 2 shown]
	ds_write_b128 v23, v[18:21]
	ds_write_b128 v23, v[12:15] offset:16
	ds_write_b128 v23, v[36:39] offset:32
.LBB0_13:
	s_or_b32 exec_lo, exec_lo, s0
	s_waitcnt lgkmcnt(0)
	s_barrier
	buffer_gl0_inv
	ds_read2_b64 v[12:15], v65 offset1:42
	ds_read2_b64 v[18:21], v65 offset0:84 offset1:126
	ds_read2_b64 v[36:39], v65 offset0:168 offset1:210
	ds_read_b64 v[22:23], v65 offset:2016
	s_waitcnt lgkmcnt(0)
	s_barrier
	buffer_gl0_inv
	s_mov_b32 s4, 0x899406f7
	s_mov_b32 s5, 0x3f6bdd2b
	s_mul_hi_u32 s1, s8, 49
	v_mul_f32_e32 v40, v9, v15
	v_mul_f32_e32 v9, v9, v14
	;; [unrolled: 1-line block ×12, first 2 shown]
	v_fmac_f32_e32 v40, v8, v14
	v_fma_f32 v8, v8, v15, -v9
	v_fmac_f32_e32 v41, v10, v18
	v_fma_f32 v9, v10, v19, -v11
	;; [unrolled: 2-line block ×6, first 2 shown]
	v_add_f32_e32 v1, v40, v45
	v_add_f32_e32 v5, v8, v2
	v_sub_f32_e32 v2, v8, v2
	v_add_f32_e32 v7, v41, v44
	v_add_f32_e32 v8, v9, v0
	v_sub_f32_e32 v10, v41, v44
	v_sub_f32_e32 v0, v9, v0
	v_add_f32_e32 v9, v42, v43
	v_add_f32_e32 v11, v4, v3
	v_sub_f32_e32 v14, v43, v42
	;; [unrolled: 4-line block ×3, first 2 shown]
	v_sub_f32_e32 v18, v7, v1
	v_sub_f32_e32 v19, v8, v5
	;; [unrolled: 1-line block ×6, first 2 shown]
	v_add_f32_e32 v1, v14, v10
	v_add_f32_e32 v21, v3, v0
	v_sub_f32_e32 v22, v14, v10
	v_sub_f32_e32 v23, v3, v0
	v_add_f32_e32 v4, v9, v4
	v_add_f32_e32 v9, v11, v15
	v_sub_f32_e32 v10, v10, v6
	v_sub_f32_e32 v11, v0, v2
	;; [unrolled: 1-line block ×4, first 2 shown]
	v_add_f32_e32 v6, v1, v6
	v_add_f32_e32 v2, v21, v2
	;; [unrolled: 1-line block ×4, first 2 shown]
	v_mul_f32_e32 v12, 0x3f4a47b2, v20
	v_mul_f32_e32 v5, 0x3f4a47b2, v5
	;; [unrolled: 1-line block ×8, first 2 shown]
	v_fmamk_f32 v4, v4, 0xbf955555, v0
	v_fmamk_f32 v9, v9, 0xbf955555, v1
	;; [unrolled: 1-line block ×4, first 2 shown]
	v_fma_f32 v13, 0x3f3bfb3b, v18, -v13
	v_fma_f32 v15, 0x3f3bfb3b, v19, -v15
	;; [unrolled: 1-line block ×4, first 2 shown]
	v_fmamk_f32 v18, v14, 0xbeae86e6, v20
	v_fmamk_f32 v19, v3, 0xbeae86e6, v21
	v_fma_f32 v10, 0xbf5ff5aa, v10, -v20
	v_fma_f32 v11, 0xbf5ff5aa, v11, -v21
	;; [unrolled: 1-line block ×4, first 2 shown]
	v_add_f32_e32 v21, v7, v4
	v_add_f32_e32 v22, v8, v9
	v_fmac_f32_e32 v18, 0xbee1c552, v6
	v_fmac_f32_e32 v19, 0xbee1c552, v2
	v_add_f32_e32 v8, v13, v4
	v_add_f32_e32 v13, v15, v9
	;; [unrolled: 1-line block ×4, first 2 shown]
	v_fmac_f32_e32 v10, 0xbee1c552, v6
	v_fmac_f32_e32 v20, 0xbee1c552, v2
	;; [unrolled: 1-line block ×4, first 2 shown]
	v_add_f32_e32 v2, v19, v21
	v_sub_f32_e32 v3, v22, v18
	v_add_f32_e32 v4, v20, v12
	v_sub_f32_e32 v5, v15, v14
	v_sub_f32_e32 v6, v8, v11
	v_add_f32_e32 v7, v10, v13
	v_add_f32_e32 v8, v11, v8
	v_sub_f32_e32 v9, v13, v10
	v_sub_f32_e32 v10, v12, v20
	v_add_f32_e32 v11, v14, v15
	v_sub_f32_e32 v12, v21, v19
	v_add_f32_e32 v13, v18, v22
	ds_write2_b64 v69, v[0:1], v[2:3] offset1:6
	ds_write2_b64 v69, v[4:5], v[6:7] offset0:12 offset1:18
	ds_write2_b64 v69, v[8:9], v[10:11] offset0:24 offset1:30
	ds_write_b64 v69, v[12:13] offset:288
	s_waitcnt lgkmcnt(0)
	s_barrier
	buffer_gl0_inv
	ds_read2_b64 v[0:3], v65 offset1:42
	ds_read2_b64 v[4:7], v65 offset0:84 offset1:126
	ds_read2_b64 v[8:11], v65 offset0:168 offset1:210
	ds_read_b64 v[12:13], v65 offset:2016
	s_waitcnt lgkmcnt(3)
	v_mul_f32_e32 v14, v33, v3
	v_mul_f32_e32 v15, v33, v2
	s_waitcnt lgkmcnt(2)
	v_mul_f32_e32 v18, v29, v7
	v_mul_f32_e32 v19, v29, v6
	s_waitcnt lgkmcnt(1)
	v_mul_f32_e32 v20, v31, v9
	v_fmac_f32_e32 v14, v32, v2
	v_fma_f32 v2, v32, v3, -v15
	v_mul_f32_e32 v3, v35, v5
	v_mul_f32_e32 v15, v35, v4
	v_fmac_f32_e32 v18, v28, v6
	v_fmac_f32_e32 v20, v30, v8
	s_waitcnt lgkmcnt(0)
	v_mul_f32_e32 v6, v27, v13
	v_fmac_f32_e32 v3, v34, v4
	v_fma_f32 v4, v34, v5, -v15
	v_fma_f32 v5, v28, v7, -v19
	v_mul_f32_e32 v7, v27, v12
	v_mul_f32_e32 v8, v31, v8
	;; [unrolled: 1-line block ×4, first 2 shown]
	v_fmac_f32_e32 v6, v26, v12
	v_fma_f32 v7, v26, v13, -v7
	v_fma_f32 v8, v30, v9, -v8
	v_fmac_f32_e32 v15, v24, v10
	v_fma_f32 v9, v24, v11, -v19
	v_add_f32_e32 v10, v14, v6
	v_add_f32_e32 v11, v2, v7
	v_sub_f32_e32 v2, v2, v7
	v_add_f32_e32 v7, v3, v15
	v_add_f32_e32 v12, v4, v9
	v_sub_f32_e32 v6, v14, v6
	v_sub_f32_e32 v3, v3, v15
	;; [unrolled: 1-line block ×3, first 2 shown]
	v_add_f32_e32 v9, v18, v20
	v_add_f32_e32 v13, v5, v8
	v_sub_f32_e32 v14, v20, v18
	v_sub_f32_e32 v5, v8, v5
	v_add_f32_e32 v8, v7, v10
	v_add_f32_e32 v15, v12, v11
	v_sub_f32_e32 v18, v7, v10
	v_sub_f32_e32 v19, v12, v11
	;; [unrolled: 1-line block ×6, first 2 shown]
	v_add_f32_e32 v20, v14, v3
	v_add_f32_e32 v21, v5, v4
	v_sub_f32_e32 v22, v14, v3
	v_sub_f32_e32 v23, v5, v4
	v_add_f32_e32 v8, v9, v8
	v_add_f32_e32 v9, v13, v15
	v_sub_f32_e32 v3, v3, v6
	v_sub_f32_e32 v4, v4, v2
	;; [unrolled: 1-line block ×4, first 2 shown]
	v_add_f32_e32 v6, v20, v6
	v_add_f32_e32 v2, v21, v2
	;; [unrolled: 1-line block ×4, first 2 shown]
	v_mul_f32_e32 v10, 0x3f4a47b2, v10
	v_mul_f32_e32 v11, 0x3f4a47b2, v11
	;; [unrolled: 1-line block ×8, first 2 shown]
	v_fmamk_f32 v8, v8, 0xbf955555, v0
	v_fmamk_f32 v9, v9, 0xbf955555, v1
	;; [unrolled: 1-line block ×4, first 2 shown]
	v_fma_f32 v13, 0x3f3bfb3b, v18, -v13
	v_fma_f32 v15, 0x3f3bfb3b, v19, -v15
	;; [unrolled: 1-line block ×4, first 2 shown]
	v_fmamk_f32 v18, v14, 0xbeae86e6, v20
	v_fmamk_f32 v19, v5, 0xbeae86e6, v21
	v_fma_f32 v20, 0xbf5ff5aa, v3, -v20
	v_fma_f32 v21, 0xbf5ff5aa, v4, -v21
	;; [unrolled: 1-line block ×4, first 2 shown]
	v_add_f32_e32 v23, v7, v8
	v_add_f32_e32 v24, v12, v9
	v_fmac_f32_e32 v18, 0xbee1c552, v6
	v_fmac_f32_e32 v19, 0xbee1c552, v2
	v_add_f32_e32 v12, v13, v8
	v_add_f32_e32 v13, v15, v9
	;; [unrolled: 1-line block ×4, first 2 shown]
	v_fmac_f32_e32 v20, 0xbee1c552, v6
	v_fmac_f32_e32 v22, 0xbee1c552, v2
	;; [unrolled: 1-line block ×4, first 2 shown]
	v_add_f32_e32 v2, v19, v23
	v_sub_f32_e32 v3, v24, v18
	v_add_f32_e32 v4, v22, v10
	v_sub_f32_e32 v5, v11, v14
	v_sub_f32_e32 v6, v12, v21
	v_add_f32_e32 v7, v20, v13
	v_add_f32_e32 v8, v21, v12
	v_sub_f32_e32 v9, v13, v20
	v_sub_f32_e32 v10, v10, v22
	v_add_f32_e32 v11, v14, v11
	v_sub_f32_e32 v12, v23, v19
	v_add_f32_e32 v13, v18, v24
	ds_write2_b64 v65, v[0:1], v[2:3] offset1:42
	ds_write2_b64 v65, v[4:5], v[6:7] offset0:84 offset1:126
	ds_write2_b64 v65, v[8:9], v[10:11] offset0:168 offset1:210
	ds_write_b64 v65, v[12:13] offset:2016
	s_waitcnt lgkmcnt(0)
	s_barrier
	buffer_gl0_inv
	ds_read2_b64 v[0:3], v65 offset1:49
	v_mad_u64_u32 v[12:13], null, s10, v50, 0
	v_mad_u64_u32 v[18:19], null, s8, v66, 0
	v_mov_b32_e32 v8, v13
	v_mad_u64_u32 v[19:20], null, s9, v66, v[19:20]
	v_mad_u64_u32 v[8:9], null, s11, v50, v[8:9]
	s_waitcnt lgkmcnt(0)
	v_mul_f32_e32 v4, v62, v1
	v_mul_f32_e32 v5, v62, v0
	v_mov_b32_e32 v13, v8
	ds_read2_b64 v[8:11], v65 offset0:196 offset1:245
	v_mul_f32_e32 v20, v54, v3
	v_fmac_f32_e32 v4, v61, v0
	v_fma_f32 v5, v61, v1, -v5
	v_mul_f32_e32 v21, v54, v2
	v_lshlrev_b64 v[12:13], 3, v[12:13]
	v_fmac_f32_e32 v20, v53, v2
	v_cvt_f64_f32_e32 v[0:1], v4
	v_cvt_f64_f32_e32 v[14:15], v5
	ds_read2_b64 v[4:7], v65 offset0:98 offset1:147
	v_fma_f32 v21, v53, v3, -v21
	v_cvt_f64_f32_e32 v[2:3], v20
	v_add_co_u32 v30, s0, s2, v12
	v_add_co_ci_u32_e64 v31, s0, s3, v13, s0
	v_lshlrev_b64 v[12:13], 3, v[18:19]
	s_waitcnt lgkmcnt(1)
	v_mul_f32_e32 v27, v58, v8
	v_mul_f32_e32 v26, v58, v9
	;; [unrolled: 1-line block ×4, first 2 shown]
	v_add_co_u32 v12, s0, v30, v12
	v_fma_f32 v27, v57, v9, -v27
	v_fmac_f32_e32 v26, v57, v8
	v_fmac_f32_e32 v28, v59, v10
	s_waitcnt lgkmcnt(0)
	v_mul_f32_e32 v24, v52, v7
	v_mul_f32_e32 v22, v56, v5
	;; [unrolled: 1-line block ×3, first 2 shown]
	v_fma_f32 v29, v59, v11, -v29
	v_mul_f64 v[0:1], v[0:1], s[4:5]
	v_fmac_f32_e32 v24, v51, v6
	v_mul_f32_e32 v6, v52, v6
	v_fmac_f32_e32 v22, v55, v4
	v_fma_f32 v23, v55, v5, -v23
	v_cvt_f64_f32_e32 v[4:5], v21
	v_mul_f64 v[14:15], v[14:15], s[4:5]
	v_fma_f32 v6, v51, v7, -v6
	v_cvt_f64_f32_e32 v[20:21], v22
	v_cvt_f64_f32_e32 v[22:23], v23
	;; [unrolled: 1-line block ×8, first 2 shown]
	v_mul_f64 v[2:3], v[2:3], s[4:5]
	v_add_co_ci_u32_e64 v13, s0, v31, v13, s0
	s_mul_i32 s0, s9, 49
	s_add_i32 s1, s1, s0
	v_cvt_f32_f64_e32 v0, v[0:1]
	s_mul_i32 s0, s8, 49
	s_lshl_b64 s[2:3], s[0:1], 3
	v_mul_f64 v[4:5], v[4:5], s[4:5]
	v_cvt_f32_f64_e32 v1, v[14:15]
	v_mul_f64 v[14:15], v[20:21], s[4:5]
	v_mul_f64 v[18:19], v[22:23], s[4:5]
	;; [unrolled: 1-line block ×8, first 2 shown]
	v_cvt_f32_f64_e32 v2, v[2:3]
	v_cvt_f32_f64_e32 v3, v[4:5]
	v_add_co_u32 v4, s0, v12, s2
	v_add_co_ci_u32_e64 v5, s0, s3, v13, s0
	v_cvt_f32_f64_e32 v14, v[14:15]
	v_cvt_f32_f64_e32 v15, v[18:19]
	;; [unrolled: 1-line block ×4, first 2 shown]
	v_add_co_u32 v10, s0, v4, s2
	v_cvt_f32_f64_e32 v18, v[20:21]
	v_add_co_ci_u32_e64 v11, s0, s3, v5, s0
	v_cvt_f32_f64_e32 v6, v[8:9]
	v_cvt_f32_f64_e32 v8, v[22:23]
	;; [unrolled: 1-line block ×3, first 2 shown]
	v_add_co_u32 v20, s0, v10, s2
	v_add_co_ci_u32_e64 v21, s0, s3, v11, s0
	global_store_dwordx2 v[12:13], v[0:1], off
	v_add_co_u32 v22, s0, v20, s2
	v_add_co_ci_u32_e64 v23, s0, s3, v21, s0
	v_add_co_u32 v0, s0, v22, s2
	v_add_co_ci_u32_e64 v1, s0, s3, v23, s0
	global_store_dwordx2 v[4:5], v[2:3], off
	global_store_dwordx2 v[10:11], v[14:15], off
	;; [unrolled: 1-line block ×5, first 2 shown]
	s_and_b32 exec_lo, exec_lo, vcc_lo
	s_cbranch_execz .LBB0_15
; %bb.14:
	s_clause 0x5
	global_load_dwordx2 v[14:15], v[48:49], off offset:336
	global_load_dwordx2 v[18:19], v[48:49], off offset:728
	;; [unrolled: 1-line block ×6, first 2 shown]
	v_add_nc_u32_e32 v10, 0x400, v65
	ds_read2_b64 v[2:5], v65 offset0:42 offset1:91
	v_mad_u64_u32 v[0:1], null, 0xfffff9a8, s8, v[0:1]
	ds_read2_b64 v[6:9], v65 offset0:140 offset1:189
	ds_read2_b64 v[10:13], v10 offset0:110 offset1:159
	s_mul_i32 s0, s9, 0xfffff9a8
	s_sub_i32 s0, s0, s8
	v_add_nc_u32_e32 v1, s0, v1
	s_waitcnt vmcnt(5) lgkmcnt(2)
	v_mul_f32_e32 v26, v3, v15
	v_mul_f32_e32 v15, v2, v15
	s_waitcnt vmcnt(4)
	v_mul_f32_e32 v27, v5, v19
	v_mul_f32_e32 v19, v4, v19
	s_waitcnt vmcnt(3) lgkmcnt(1)
	v_mul_f32_e32 v28, v7, v21
	v_mul_f32_e32 v21, v6, v21
	s_waitcnt vmcnt(2)
	v_mul_f32_e32 v29, v9, v23
	v_mul_f32_e32 v23, v8, v23
	;; [unrolled: 6-line block ×3, first 2 shown]
	v_fmac_f32_e32 v26, v2, v14
	v_fma_f32 v14, v14, v3, -v15
	v_fmac_f32_e32 v27, v4, v18
	v_fma_f32 v15, v18, v5, -v19
	;; [unrolled: 2-line block ×6, first 2 shown]
	v_cvt_f64_f32_e32 v[2:3], v26
	v_cvt_f64_f32_e32 v[4:5], v14
	;; [unrolled: 1-line block ×12, first 2 shown]
	v_add_co_u32 v26, vcc_lo, v0, s2
	v_add_co_ci_u32_e32 v27, vcc_lo, s3, v1, vcc_lo
	v_mul_f64 v[2:3], v[2:3], s[4:5]
	v_mul_f64 v[4:5], v[4:5], s[4:5]
	;; [unrolled: 1-line block ×12, first 2 shown]
	v_cvt_f32_f64_e32 v2, v[2:3]
	v_cvt_f32_f64_e32 v3, v[4:5]
	;; [unrolled: 1-line block ×12, first 2 shown]
	v_add_co_u32 v14, vcc_lo, v26, s2
	v_add_co_ci_u32_e32 v15, vcc_lo, s3, v27, vcc_lo
	v_add_co_u32 v16, vcc_lo, v14, s2
	v_add_co_ci_u32_e32 v17, vcc_lo, s3, v15, vcc_lo
	;; [unrolled: 2-line block ×4, first 2 shown]
	global_store_dwordx2 v[0:1], v[2:3], off
	global_store_dwordx2 v[26:27], v[4:5], off
	global_store_dwordx2 v[14:15], v[6:7], off
	global_store_dwordx2 v[16:17], v[8:9], off
	global_store_dwordx2 v[18:19], v[10:11], off
	global_store_dwordx2 v[20:21], v[12:13], off
.LBB0_15:
	s_endpgm
	.section	.rodata,"a",@progbits
	.p2align	6, 0x0
	.amdhsa_kernel bluestein_single_back_len294_dim1_sp_op_CI_CI
		.amdhsa_group_segment_fixed_size 7056
		.amdhsa_private_segment_fixed_size 0
		.amdhsa_kernarg_size 104
		.amdhsa_user_sgpr_count 6
		.amdhsa_user_sgpr_private_segment_buffer 1
		.amdhsa_user_sgpr_dispatch_ptr 0
		.amdhsa_user_sgpr_queue_ptr 0
		.amdhsa_user_sgpr_kernarg_segment_ptr 1
		.amdhsa_user_sgpr_dispatch_id 0
		.amdhsa_user_sgpr_flat_scratch_init 0
		.amdhsa_user_sgpr_private_segment_size 0
		.amdhsa_wavefront_size32 1
		.amdhsa_uses_dynamic_stack 0
		.amdhsa_system_sgpr_private_segment_wavefront_offset 0
		.amdhsa_system_sgpr_workgroup_id_x 1
		.amdhsa_system_sgpr_workgroup_id_y 0
		.amdhsa_system_sgpr_workgroup_id_z 0
		.amdhsa_system_sgpr_workgroup_info 0
		.amdhsa_system_vgpr_workitem_id 0
		.amdhsa_next_free_vgpr 92
		.amdhsa_next_free_sgpr 16
		.amdhsa_reserve_vcc 1
		.amdhsa_reserve_flat_scratch 0
		.amdhsa_float_round_mode_32 0
		.amdhsa_float_round_mode_16_64 0
		.amdhsa_float_denorm_mode_32 3
		.amdhsa_float_denorm_mode_16_64 3
		.amdhsa_dx10_clamp 1
		.amdhsa_ieee_mode 1
		.amdhsa_fp16_overflow 0
		.amdhsa_workgroup_processor_mode 1
		.amdhsa_memory_ordered 1
		.amdhsa_forward_progress 0
		.amdhsa_shared_vgpr_count 0
		.amdhsa_exception_fp_ieee_invalid_op 0
		.amdhsa_exception_fp_denorm_src 0
		.amdhsa_exception_fp_ieee_div_zero 0
		.amdhsa_exception_fp_ieee_overflow 0
		.amdhsa_exception_fp_ieee_underflow 0
		.amdhsa_exception_fp_ieee_inexact 0
		.amdhsa_exception_int_div_zero 0
	.end_amdhsa_kernel
	.text
.Lfunc_end0:
	.size	bluestein_single_back_len294_dim1_sp_op_CI_CI, .Lfunc_end0-bluestein_single_back_len294_dim1_sp_op_CI_CI
                                        ; -- End function
	.section	.AMDGPU.csdata,"",@progbits
; Kernel info:
; codeLenInByte = 7080
; NumSgprs: 18
; NumVgprs: 92
; ScratchSize: 0
; MemoryBound: 0
; FloatMode: 240
; IeeeMode: 1
; LDSByteSize: 7056 bytes/workgroup (compile time only)
; SGPRBlocks: 2
; VGPRBlocks: 11
; NumSGPRsForWavesPerEU: 18
; NumVGPRsForWavesPerEU: 92
; Occupancy: 10
; WaveLimiterHint : 1
; COMPUTE_PGM_RSRC2:SCRATCH_EN: 0
; COMPUTE_PGM_RSRC2:USER_SGPR: 6
; COMPUTE_PGM_RSRC2:TRAP_HANDLER: 0
; COMPUTE_PGM_RSRC2:TGID_X_EN: 1
; COMPUTE_PGM_RSRC2:TGID_Y_EN: 0
; COMPUTE_PGM_RSRC2:TGID_Z_EN: 0
; COMPUTE_PGM_RSRC2:TIDIG_COMP_CNT: 0
	.text
	.p2alignl 6, 3214868480
	.fill 48, 4, 3214868480
	.type	__hip_cuid_89edd09b7257a2a8,@object ; @__hip_cuid_89edd09b7257a2a8
	.section	.bss,"aw",@nobits
	.globl	__hip_cuid_89edd09b7257a2a8
__hip_cuid_89edd09b7257a2a8:
	.byte	0                               ; 0x0
	.size	__hip_cuid_89edd09b7257a2a8, 1

	.ident	"AMD clang version 19.0.0git (https://github.com/RadeonOpenCompute/llvm-project roc-6.4.0 25133 c7fe45cf4b819c5991fe208aaa96edf142730f1d)"
	.section	".note.GNU-stack","",@progbits
	.addrsig
	.addrsig_sym __hip_cuid_89edd09b7257a2a8
	.amdgpu_metadata
---
amdhsa.kernels:
  - .args:
      - .actual_access:  read_only
        .address_space:  global
        .offset:         0
        .size:           8
        .value_kind:     global_buffer
      - .actual_access:  read_only
        .address_space:  global
        .offset:         8
        .size:           8
        .value_kind:     global_buffer
      - .actual_access:  read_only
        .address_space:  global
        .offset:         16
        .size:           8
        .value_kind:     global_buffer
      - .actual_access:  read_only
        .address_space:  global
        .offset:         24
        .size:           8
        .value_kind:     global_buffer
      - .actual_access:  read_only
        .address_space:  global
        .offset:         32
        .size:           8
        .value_kind:     global_buffer
      - .offset:         40
        .size:           8
        .value_kind:     by_value
      - .address_space:  global
        .offset:         48
        .size:           8
        .value_kind:     global_buffer
      - .address_space:  global
        .offset:         56
        .size:           8
        .value_kind:     global_buffer
      - .address_space:  global
        .offset:         64
        .size:           8
        .value_kind:     global_buffer
      - .address_space:  global
        .offset:         72
        .size:           8
        .value_kind:     global_buffer
      - .offset:         80
        .size:           4
        .value_kind:     by_value
      - .address_space:  global
        .offset:         88
        .size:           8
        .value_kind:     global_buffer
      - .address_space:  global
        .offset:         96
        .size:           8
        .value_kind:     global_buffer
    .group_segment_fixed_size: 7056
    .kernarg_segment_align: 8
    .kernarg_segment_size: 104
    .language:       OpenCL C
    .language_version:
      - 2
      - 0
    .max_flat_workgroup_size: 126
    .name:           bluestein_single_back_len294_dim1_sp_op_CI_CI
    .private_segment_fixed_size: 0
    .sgpr_count:     18
    .sgpr_spill_count: 0
    .symbol:         bluestein_single_back_len294_dim1_sp_op_CI_CI.kd
    .uniform_work_group_size: 1
    .uses_dynamic_stack: false
    .vgpr_count:     92
    .vgpr_spill_count: 0
    .wavefront_size: 32
    .workgroup_processor_mode: 1
amdhsa.target:   amdgcn-amd-amdhsa--gfx1030
amdhsa.version:
  - 1
  - 2
...

	.end_amdgpu_metadata
